;; amdgpu-corpus repo=ROCm/rocFFT kind=compiled arch=gfx906 opt=O3
	.text
	.amdgcn_target "amdgcn-amd-amdhsa--gfx906"
	.amdhsa_code_object_version 6
	.protected	fft_rtc_back_len832_factors_13_2_2_2_2_2_2_wgs_104_tpt_104_halfLds_half_op_CI_CI_unitstride_sbrr_dirReg ; -- Begin function fft_rtc_back_len832_factors_13_2_2_2_2_2_2_wgs_104_tpt_104_halfLds_half_op_CI_CI_unitstride_sbrr_dirReg
	.globl	fft_rtc_back_len832_factors_13_2_2_2_2_2_2_wgs_104_tpt_104_halfLds_half_op_CI_CI_unitstride_sbrr_dirReg
	.p2align	8
	.type	fft_rtc_back_len832_factors_13_2_2_2_2_2_2_wgs_104_tpt_104_halfLds_half_op_CI_CI_unitstride_sbrr_dirReg,@function
fft_rtc_back_len832_factors_13_2_2_2_2_2_2_wgs_104_tpt_104_halfLds_half_op_CI_CI_unitstride_sbrr_dirReg: ; @fft_rtc_back_len832_factors_13_2_2_2_2_2_2_wgs_104_tpt_104_halfLds_half_op_CI_CI_unitstride_sbrr_dirReg
; %bb.0:
	s_load_dwordx4 s[8:11], s[4:5], 0x58
	s_load_dwordx4 s[12:15], s[4:5], 0x0
	;; [unrolled: 1-line block ×3, first 2 shown]
	v_mul_u32_u24_e32 v1, 0x277, v0
	v_mov_b32_e32 v5, 0
	v_mov_b32_e32 v7, 0
	s_waitcnt lgkmcnt(0)
	v_cmp_lt_u64_e64 s[0:1], s[14:15], 2
	v_add_u32_sdwa v9, s6, v1 dst_sel:DWORD dst_unused:UNUSED_PAD src0_sel:DWORD src1_sel:WORD_1
	v_mov_b32_e32 v10, v5
	s_and_b64 vcc, exec, s[0:1]
	v_mov_b32_e32 v8, 0
	s_cbranch_vccnz .LBB0_8
; %bb.1:
	s_load_dwordx2 s[0:1], s[4:5], 0x10
	s_add_u32 s2, s18, 8
	s_addc_u32 s3, s19, 0
	s_add_u32 s6, s16, 8
	s_addc_u32 s7, s17, 0
	v_mov_b32_e32 v7, 0
	s_waitcnt lgkmcnt(0)
	s_add_u32 s20, s0, 8
	v_mov_b32_e32 v8, 0
	v_mov_b32_e32 v1, v7
	s_addc_u32 s21, s1, 0
	s_mov_b64 s[22:23], 1
	v_mov_b32_e32 v2, v8
.LBB0_2:                                ; =>This Inner Loop Header: Depth=1
	s_load_dwordx2 s[24:25], s[20:21], 0x0
                                        ; implicit-def: $vgpr3_vgpr4
	s_waitcnt lgkmcnt(0)
	v_or_b32_e32 v6, s25, v10
	v_cmp_ne_u64_e32 vcc, 0, v[5:6]
	s_and_saveexec_b64 s[0:1], vcc
	s_xor_b64 s[26:27], exec, s[0:1]
	s_cbranch_execz .LBB0_4
; %bb.3:                                ;   in Loop: Header=BB0_2 Depth=1
	v_cvt_f32_u32_e32 v3, s24
	v_cvt_f32_u32_e32 v4, s25
	s_sub_u32 s0, 0, s24
	s_subb_u32 s1, 0, s25
	v_mac_f32_e32 v3, 0x4f800000, v4
	v_rcp_f32_e32 v3, v3
	v_mul_f32_e32 v3, 0x5f7ffffc, v3
	v_mul_f32_e32 v4, 0x2f800000, v3
	v_trunc_f32_e32 v4, v4
	v_mac_f32_e32 v3, 0xcf800000, v4
	v_cvt_u32_f32_e32 v4, v4
	v_cvt_u32_f32_e32 v3, v3
	v_mul_lo_u32 v6, s0, v4
	v_mul_hi_u32 v11, s0, v3
	v_mul_lo_u32 v13, s1, v3
	v_mul_lo_u32 v12, s0, v3
	v_add_u32_e32 v6, v11, v6
	v_add_u32_e32 v6, v6, v13
	v_mul_hi_u32 v11, v3, v12
	v_mul_lo_u32 v13, v3, v6
	v_mul_hi_u32 v15, v3, v6
	v_mul_hi_u32 v14, v4, v12
	v_mul_lo_u32 v12, v4, v12
	v_mul_hi_u32 v16, v4, v6
	v_add_co_u32_e32 v11, vcc, v11, v13
	v_addc_co_u32_e32 v13, vcc, 0, v15, vcc
	v_mul_lo_u32 v6, v4, v6
	v_add_co_u32_e32 v11, vcc, v11, v12
	v_addc_co_u32_e32 v11, vcc, v13, v14, vcc
	v_addc_co_u32_e32 v12, vcc, 0, v16, vcc
	v_add_co_u32_e32 v6, vcc, v11, v6
	v_addc_co_u32_e32 v11, vcc, 0, v12, vcc
	v_add_co_u32_e32 v3, vcc, v3, v6
	v_addc_co_u32_e32 v4, vcc, v4, v11, vcc
	v_mul_lo_u32 v6, s0, v4
	v_mul_hi_u32 v11, s0, v3
	v_mul_lo_u32 v12, s1, v3
	v_mul_lo_u32 v13, s0, v3
	v_add_u32_e32 v6, v11, v6
	v_add_u32_e32 v6, v6, v12
	v_mul_lo_u32 v14, v3, v6
	v_mul_hi_u32 v15, v3, v13
	v_mul_hi_u32 v16, v3, v6
	v_mul_hi_u32 v12, v4, v13
	v_mul_lo_u32 v13, v4, v13
	v_mul_hi_u32 v11, v4, v6
	v_add_co_u32_e32 v14, vcc, v15, v14
	v_addc_co_u32_e32 v15, vcc, 0, v16, vcc
	v_mul_lo_u32 v6, v4, v6
	v_add_co_u32_e32 v13, vcc, v14, v13
	v_addc_co_u32_e32 v12, vcc, v15, v12, vcc
	v_addc_co_u32_e32 v11, vcc, 0, v11, vcc
	v_add_co_u32_e32 v6, vcc, v12, v6
	v_addc_co_u32_e32 v11, vcc, 0, v11, vcc
	v_add_co_u32_e32 v6, vcc, v3, v6
	v_addc_co_u32_e32 v11, vcc, v4, v11, vcc
	v_mad_u64_u32 v[3:4], s[0:1], v9, v11, 0
	v_mul_hi_u32 v12, v9, v6
	v_add_co_u32_e32 v13, vcc, v12, v3
	v_addc_co_u32_e32 v14, vcc, 0, v4, vcc
	v_mad_u64_u32 v[3:4], s[0:1], v10, v6, 0
	v_mad_u64_u32 v[11:12], s[0:1], v10, v11, 0
	v_add_co_u32_e32 v3, vcc, v13, v3
	v_addc_co_u32_e32 v3, vcc, v14, v4, vcc
	v_addc_co_u32_e32 v4, vcc, 0, v12, vcc
	v_add_co_u32_e32 v6, vcc, v3, v11
	v_addc_co_u32_e32 v11, vcc, 0, v4, vcc
	v_mul_lo_u32 v12, s25, v6
	v_mul_lo_u32 v13, s24, v11
	v_mad_u64_u32 v[3:4], s[0:1], s24, v6, 0
	v_add3_u32 v4, v4, v13, v12
	v_sub_u32_e32 v12, v10, v4
	v_mov_b32_e32 v13, s25
	v_sub_co_u32_e32 v3, vcc, v9, v3
	v_subb_co_u32_e64 v12, s[0:1], v12, v13, vcc
	v_subrev_co_u32_e64 v13, s[0:1], s24, v3
	v_subbrev_co_u32_e64 v12, s[0:1], 0, v12, s[0:1]
	v_cmp_le_u32_e64 s[0:1], s25, v12
	v_cndmask_b32_e64 v14, 0, -1, s[0:1]
	v_cmp_le_u32_e64 s[0:1], s24, v13
	v_cndmask_b32_e64 v13, 0, -1, s[0:1]
	v_cmp_eq_u32_e64 s[0:1], s25, v12
	v_cndmask_b32_e64 v12, v14, v13, s[0:1]
	v_add_co_u32_e64 v13, s[0:1], 2, v6
	v_addc_co_u32_e64 v14, s[0:1], 0, v11, s[0:1]
	v_add_co_u32_e64 v15, s[0:1], 1, v6
	v_addc_co_u32_e64 v16, s[0:1], 0, v11, s[0:1]
	v_subb_co_u32_e32 v4, vcc, v10, v4, vcc
	v_cmp_ne_u32_e64 s[0:1], 0, v12
	v_cmp_le_u32_e32 vcc, s25, v4
	v_cndmask_b32_e64 v12, v16, v14, s[0:1]
	v_cndmask_b32_e64 v14, 0, -1, vcc
	v_cmp_le_u32_e32 vcc, s24, v3
	v_cndmask_b32_e64 v3, 0, -1, vcc
	v_cmp_eq_u32_e32 vcc, s25, v4
	v_cndmask_b32_e32 v3, v14, v3, vcc
	v_cmp_ne_u32_e32 vcc, 0, v3
	v_cndmask_b32_e64 v3, v15, v13, s[0:1]
	v_cndmask_b32_e32 v4, v11, v12, vcc
	v_cndmask_b32_e32 v3, v6, v3, vcc
.LBB0_4:                                ;   in Loop: Header=BB0_2 Depth=1
	s_andn2_saveexec_b64 s[0:1], s[26:27]
	s_cbranch_execz .LBB0_6
; %bb.5:                                ;   in Loop: Header=BB0_2 Depth=1
	v_cvt_f32_u32_e32 v3, s24
	s_sub_i32 s26, 0, s24
	v_rcp_iflag_f32_e32 v3, v3
	v_mul_f32_e32 v3, 0x4f7ffffe, v3
	v_cvt_u32_f32_e32 v3, v3
	v_mul_lo_u32 v4, s26, v3
	v_mul_hi_u32 v4, v3, v4
	v_add_u32_e32 v3, v3, v4
	v_mul_hi_u32 v3, v9, v3
	v_mul_lo_u32 v4, v3, s24
	v_add_u32_e32 v6, 1, v3
	v_sub_u32_e32 v4, v9, v4
	v_subrev_u32_e32 v11, s24, v4
	v_cmp_le_u32_e32 vcc, s24, v4
	v_cndmask_b32_e32 v4, v4, v11, vcc
	v_cndmask_b32_e32 v3, v3, v6, vcc
	v_add_u32_e32 v6, 1, v3
	v_cmp_le_u32_e32 vcc, s24, v4
	v_cndmask_b32_e32 v3, v3, v6, vcc
	v_mov_b32_e32 v4, v5
.LBB0_6:                                ;   in Loop: Header=BB0_2 Depth=1
	s_or_b64 exec, exec, s[0:1]
	v_mul_lo_u32 v6, v4, s24
	v_mul_lo_u32 v13, v3, s25
	v_mad_u64_u32 v[11:12], s[0:1], v3, s24, 0
	s_load_dwordx2 s[0:1], s[6:7], 0x0
	s_load_dwordx2 s[24:25], s[2:3], 0x0
	v_add3_u32 v6, v12, v13, v6
	v_sub_co_u32_e32 v9, vcc, v9, v11
	v_subb_co_u32_e32 v6, vcc, v10, v6, vcc
	s_waitcnt lgkmcnt(0)
	v_mul_lo_u32 v10, s0, v6
	v_mul_lo_u32 v11, s1, v9
	v_mad_u64_u32 v[7:8], s[0:1], s0, v9, v[7:8]
	s_add_u32 s22, s22, 1
	s_addc_u32 s23, s23, 0
	s_add_u32 s2, s2, 8
	v_mul_lo_u32 v6, s24, v6
	v_mul_lo_u32 v12, s25, v9
	v_mad_u64_u32 v[1:2], s[0:1], s24, v9, v[1:2]
	v_add3_u32 v8, v11, v8, v10
	s_addc_u32 s3, s3, 0
	v_mov_b32_e32 v9, s14
	s_add_u32 s6, s6, 8
	v_mov_b32_e32 v10, s15
	s_addc_u32 s7, s7, 0
	v_cmp_ge_u64_e32 vcc, s[22:23], v[9:10]
	s_add_u32 s20, s20, 8
	v_add3_u32 v2, v12, v2, v6
	s_addc_u32 s21, s21, 0
	s_cbranch_vccnz .LBB0_9
; %bb.7:                                ;   in Loop: Header=BB0_2 Depth=1
	v_mov_b32_e32 v10, v4
	v_mov_b32_e32 v9, v3
	s_branch .LBB0_2
.LBB0_8:
	v_mov_b32_e32 v1, v7
	v_mov_b32_e32 v3, v9
	;; [unrolled: 1-line block ×4, first 2 shown]
.LBB0_9:
	s_load_dwordx2 s[0:1], s[4:5], 0x28
	s_mov_b32 s4, 0x2762763
	v_mul_hi_u32 v5, v0, s4
	s_lshl_b64 s[2:3], s[14:15], 3
	s_add_u32 s4, s18, s2
	s_waitcnt lgkmcnt(0)
	v_cmp_gt_u64_e32 vcc, s[0:1], v[3:4]
	v_mul_u32_u24_e32 v5, 0x68, v5
	v_sub_u32_e32 v5, v0, v5
	v_cmp_gt_u32_e64 s[0:1], 64, v5
	s_addc_u32 s5, s19, s3
	s_and_b64 s[14:15], vcc, s[0:1]
	v_mov_b32_e32 v6, 0
	v_mov_b32_e32 v0, 0
                                        ; implicit-def: $vgpr18
                                        ; implicit-def: $vgpr9
                                        ; implicit-def: $vgpr19
                                        ; implicit-def: $vgpr10
                                        ; implicit-def: $vgpr20
                                        ; implicit-def: $vgpr11
                                        ; implicit-def: $vgpr21
                                        ; implicit-def: $vgpr12
                                        ; implicit-def: $vgpr23
                                        ; implicit-def: $vgpr13
                                        ; implicit-def: $vgpr24
                                        ; implicit-def: $vgpr14
                                        ; implicit-def: $vgpr26
                                        ; implicit-def: $vgpr15
                                        ; implicit-def: $vgpr32
                                        ; implicit-def: $vgpr27
                                        ; implicit-def: $vgpr31
                                        ; implicit-def: $vgpr25
                                        ; implicit-def: $vgpr30
                                        ; implicit-def: $vgpr22
                                        ; implicit-def: $vgpr29
                                        ; implicit-def: $vgpr17
                                        ; implicit-def: $vgpr28
                                        ; implicit-def: $vgpr16
	s_and_saveexec_b64 s[6:7], s[14:15]
	s_cbranch_execz .LBB0_11
; %bb.10:
	s_add_u32 s2, s16, s2
	s_addc_u32 s3, s17, s3
	s_load_dwordx2 s[2:3], s[2:3], 0x0
	v_mov_b32_e32 v12, s9
	v_lshlrev_b64 v[7:8], 2, v[7:8]
	v_mov_b32_e32 v6, 0
	s_waitcnt lgkmcnt(0)
	v_mul_lo_u32 v0, s3, v3
	v_mul_lo_u32 v11, s2, v4
	v_mad_u64_u32 v[9:10], s[2:3], s2, v3, 0
	v_add3_u32 v10, v10, v11, v0
	v_lshlrev_b64 v[9:10], 2, v[9:10]
	v_add_co_u32_e64 v0, s[2:3], s8, v9
	v_addc_co_u32_e64 v9, s[2:3], v12, v10, s[2:3]
	v_add_co_u32_e64 v0, s[2:3], v0, v7
	v_lshlrev_b64 v[6:7], 2, v[5:6]
	v_addc_co_u32_e64 v8, s[2:3], v9, v8, s[2:3]
	v_add_co_u32_e64 v6, s[2:3], v0, v6
	v_addc_co_u32_e64 v7, s[2:3], v8, v7, s[2:3]
	global_load_dword v0, v[6:7], off
	global_load_dword v9, v[6:7], off offset:256
	global_load_dword v10, v[6:7], off offset:512
	;; [unrolled: 1-line block ×12, first 2 shown]
	s_waitcnt vmcnt(12)
	v_lshrrev_b32_e32 v6, 16, v0
	s_waitcnt vmcnt(11)
	v_lshrrev_b32_e32 v18, 16, v9
	;; [unrolled: 2-line block ×13, first 2 shown]
.LBB0_11:
	s_or_b64 exec, exec, s[6:7]
	s_and_saveexec_b64 s[2:3], s[0:1]
	s_cbranch_execz .LBB0_13
; %bb.12:
	v_sub_f16_e32 v8, v18, v32
	s_mov_b32 s7, 0xba95b770
	v_add_f16_e32 v7, v9, v27
	s_mov_b32 s6, 0x388b3b15
	v_pk_mul_f16 v38, v8, s7 op_sel_hi:[0,1]
	s_mov_b32 s8, 0xbb7bba95
	v_sub_f16_e32 v35, v19, v31
	v_add_f16_e32 v37, v10, v25
	s_mov_b32 s7, 0xb5ac388b
	v_pk_fma_f16 v33, v7, s6, v38 op_sel_hi:[0,1,1]
	v_pk_mul_f16 v39, v35, s8 op_sel_hi:[0,1]
	s_mov_b32 s9, 0xb3a8bbf1
	v_sub_f16_e32 v36, v20, v30
	v_pk_add_f16 v33, v0, v33 op_sel_hi:[0,1]
	v_pk_fma_f16 v34, v37, s7, v39 op_sel_hi:[0,1,1]
	s_mov_b32 s8, 0xbbc42fb7
	v_add_f16_e32 v40, v11, v22
	v_pk_mul_f16 v41, v36, s9 op_sel_hi:[0,1]
	s_mov_b32 s14, 0x394ebb7b
	v_sub_f16_e32 v43, v21, v29
	v_pk_add_f16 v33, v33, v34
	v_pk_fma_f16 v34, v40, s8, v41 op_sel_hi:[0,1,1]
	s_mov_b32 s9, 0xb9fdb5ac
	v_add_f16_e32 v42, v12, v17
	v_pk_mul_f16 v44, v43, s14 op_sel_hi:[0,1]
	s_mov_b32 s15, 0x3bf1b94e
	v_sub_f16_e32 v46, v23, v28
	v_pk_add_f16 v33, v33, v34
	v_pk_fma_f16 v34, v42, s9, v44 op_sel_hi:[0,1,1]
	s_mov_b32 s14, 0x2fb7b9fd
	v_add_f16_e32 v45, v13, v16
	v_pk_mul_f16 v47, v46, s15 op_sel_hi:[0,1]
	s_mov_b32 s16, 0xbb7bbbf1
	v_pk_add_f16 v33, v33, v34
	v_pk_fma_f16 v34, v45, s14, v47 op_sel_hi:[0,1,1]
	s_mov_b32 s15, 0xb5ac2fb7
	s_mov_b32 s18, 0x394eb3a8
	v_pk_mul_f16 v48, v8, s16 op_sel_hi:[0,1]
	v_pk_add_f16 v33, v33, v34
	s_mov_b32 s17, 0xb9fdbbc4
	v_pk_fma_f16 v34, v7, s15, v48 op_sel_hi:[0,1,1]
	v_pk_mul_f16 v49, v35, s18 op_sel_hi:[0,1]
	v_pk_add_f16 v34, v0, v34 op_sel_hi:[0,1]
	v_pk_fma_f16 v50, v37, s17, v49 op_sel_hi:[0,1,1]
	s_mov_b32 s18, 0x37703b7b
	v_pk_add_f16 v34, v34, v50
	s_mov_b32 s16, 0x3b15b5ac
	v_pk_mul_f16 v50, v36, s18 op_sel_hi:[0,1]
	v_pk_fma_f16 v51, v40, s16, v50 op_sel_hi:[0,1,1]
	s_mov_b32 s19, 0xbbf13770
	v_pk_add_f16 v34, v34, v51
	s_mov_b32 s18, 0x2fb73b15
	v_pk_mul_f16 v51, v43, s19 op_sel_hi:[0,1]
	;; [unrolled: 5-line block ×3, first 2 shown]
	v_pk_fma_f16 v53, v45, s19, v52 op_sel_hi:[0,1,1]
	s_mov_b32 s21, 0x3770b3a8
	s_mov_b32 s23, 0x3a95b94e
	v_sub_f16_e32 v54, v24, v26
	v_pk_add_f16 v34, v34, v53
	s_mov_b32 s20, 0x3b15bbc4
	v_add_f16_e32 v53, v14, v15
	v_pk_mul_f16 v55, v54, s21 op_sel_hi:[0,1]
	v_pk_mul_f16 v57, v54, s23 op_sel_hi:[0,1]
	s_mov_b32 s23, 0xb3a8b94e
	s_mov_b32 s22, 0x388bb9fd
	v_pk_fma_f16 v56, v53, s20, v55 op_sel_hi:[0,1,1]
	s_mov_b32 s21, 0xbbc4b9fd
	v_pk_mul_f16 v8, v8, s23 op_sel_hi:[0,1]
	s_mov_b32 s24, 0x37703bf1
	v_pk_fma_f16 v58, v53, s22, v57 op_sel_hi:[0,1,1]
	v_pk_add_f16 v33, v56, v33
	s_mov_b32 s23, 0x3b152fb7
	v_pk_mul_f16 v56, v35, s24 op_sel_hi:[0,1]
	v_pk_fma_f16 v35, v7, s21, v8 op_sel_hi:[0,1,1]
	s_mov_b32 s25, 0xb94eba95
	v_pk_fma_f16 v8, v7, s21, v8 op_sel_hi:[0,1,1] neg_lo:[0,0,1] neg_hi:[0,0,1]
	v_pk_add_f16 v34, v58, v34
	v_pk_add_f16 v35, v0, v35 op_sel_hi:[0,1]
	v_pk_fma_f16 v58, v37, s23, v56 op_sel_hi:[0,1,1]
	s_mov_b32 s24, 0xb9fd388b
	v_pk_mul_f16 v36, v36, s25 op_sel_hi:[0,1]
	s_mov_b32 s26, 0x3a9533a8
	v_pk_add_f16 v8, v0, v8 op_sel_hi:[0,1]
	v_pk_fma_f16 v56, v37, s23, v56 op_sel_hi:[0,1,1] neg_lo:[0,0,1] neg_hi:[0,0,1]
	v_pk_add_f16 v35, v35, v58
	v_pk_fma_f16 v58, v40, s24, v36 op_sel_hi:[0,1,1]
	s_mov_b32 s25, 0x388bbbc4
	v_pk_mul_f16 v43, v43, s26 op_sel_hi:[0,1]
	s_mov_b32 s27, 0xbb7b3770
	v_pk_add_f16 v8, v8, v56
	v_pk_fma_f16 v36, v40, s24, v36 op_sel_hi:[0,1,1] neg_lo:[0,0,1] neg_hi:[0,0,1]
	s_mov_b32 s26, 0xb5ac3b15
	v_pk_mul_f16 v46, v46, s27 op_sel_hi:[0,1]
	s_mov_b32 s28, 0x3bf1bb7b
	v_pk_add_f16 v8, v8, v36
	v_pk_fma_f16 v36, v42, s25, v43 op_sel_hi:[0,1,1] neg_lo:[0,0,1] neg_hi:[0,0,1]
	s_mov_b32 s27, 0x2fb7b5ac
	v_pk_mul_f16 v54, v54, s28 op_sel_hi:[0,1]
	v_pk_add_f16 v8, v8, v36
	v_pk_fma_f16 v36, v45, s26, v46 op_sel_hi:[0,1,1] neg_lo:[0,0,1] neg_hi:[0,0,1]
	v_pk_add_f16 v8, v8, v36
	v_pk_fma_f16 v36, v53, s27, v54 op_sel_hi:[0,1,1] neg_lo:[0,0,1] neg_hi:[0,0,1]
	v_pk_add_f16 v8, v36, v8
	v_alignbit_b32 v36, v8, v8, 16
	v_add_f16_e32 v8, v0, v9
	v_add_f16_e32 v8, v8, v10
	;; [unrolled: 1-line block ×9, first 2 shown]
	v_pk_add_f16 v35, v35, v58
	v_pk_fma_f16 v58, v42, s25, v43 op_sel_hi:[0,1,1]
	v_add_f16_e32 v8, v22, v8
	v_pk_add_f16 v35, v35, v58
	v_pk_fma_f16 v58, v45, s26, v46 op_sel_hi:[0,1,1]
	v_add_f16_e32 v8, v25, v8
	v_pk_add_f16 v35, v35, v58
	v_pk_fma_f16 v58, v53, s27, v54 op_sel_hi:[0,1,1]
	v_mad_u32_u24 v43, v5, 26, 0
	v_add_f16_e32 v8, v27, v8
	v_pk_add_f16 v35, v58, v35
	ds_write_b16 v43, v8
	v_pk_fma_f16 v8, v7, s15, v48 op_sel_hi:[0,1,1] neg_lo:[0,0,1] neg_hi:[0,0,1]
	ds_write_b128 v43, v[33:36] offset:2
	v_pk_add_f16 v8, v0, v8 op_sel_hi:[0,1]
	v_pk_fma_f16 v33, v37, s17, v49 op_sel_hi:[0,1,1] neg_lo:[0,0,1] neg_hi:[0,0,1]
	v_pk_add_f16 v8, v8, v33
	v_pk_fma_f16 v33, v40, s16, v50 op_sel_hi:[0,1,1] neg_lo:[0,0,1] neg_hi:[0,0,1]
	v_pk_fma_f16 v7, v7, s6, v38 op_sel_hi:[0,1,1] neg_lo:[0,0,1] neg_hi:[0,0,1]
	v_pk_add_f16 v8, v8, v33
	v_pk_fma_f16 v33, v42, s18, v51 op_sel_hi:[0,1,1] neg_lo:[0,0,1] neg_hi:[0,0,1]
	v_pk_add_f16 v0, v0, v7 op_sel_hi:[0,1]
	v_pk_fma_f16 v7, v37, s7, v39 op_sel_hi:[0,1,1] neg_lo:[0,0,1] neg_hi:[0,0,1]
	v_pk_add_f16 v8, v8, v33
	v_pk_fma_f16 v33, v45, s19, v52 op_sel_hi:[0,1,1] neg_lo:[0,0,1] neg_hi:[0,0,1]
	v_pk_add_f16 v0, v0, v7
	;; [unrolled: 2-line block ×5, first 2 shown]
	v_pk_add_f16 v0, v0, v7
	v_pk_fma_f16 v7, v45, s14, v47 op_sel_hi:[0,1,1] neg_lo:[0,0,1] neg_hi:[0,0,1]
	v_pk_add_f16 v0, v0, v7
	v_alignbit_b32 v7, v8, v8, 16
	v_pk_fma_f16 v8, v53, s20, v55 op_sel_hi:[0,1,1] neg_lo:[0,0,1] neg_hi:[0,0,1]
	v_pk_add_f16 v0, v8, v0
	v_alignbit_b32 v8, v0, v0, 16
	ds_write_b64 v43, v[7:8] offset:18
.LBB0_13:
	s_or_b64 exec, exec, s[2:3]
	v_lshl_add_u32 v0, v5, 1, 0
	s_waitcnt lgkmcnt(0)
	s_barrier
	ds_read_u16 v7, v0
	ds_read_u16 v8, v0 offset:208
	ds_read_u16 v33, v0 offset:416
	;; [unrolled: 1-line block ×7, first 2 shown]
	s_waitcnt lgkmcnt(0)
	s_barrier
	s_and_saveexec_b64 s[2:3], s[0:1]
	s_cbranch_execz .LBB0_15
; %bb.14:
	v_sub_f16_e32 v27, v9, v27
	s_mov_b32 s1, 0xba95b770
	v_add_f16_e32 v39, v6, v18
	v_add_f16_e32 v18, v18, v32
	v_sub_f16_e32 v25, v10, v25
	s_mov_b32 s0, 0x388b3b15
	v_pk_mul_f16 v10, v27, s1 op_sel_hi:[0,1]
	s_mov_b32 s6, 0xbb7bba95
	v_add_f16_e32 v39, v39, v19
	v_add_f16_e32 v19, v19, v31
	v_sub_f16_e32 v14, v14, v15
	v_pk_fma_f16 v9, v18, s0, v10 op_sel_hi:[0,1,1] neg_lo:[0,0,1] neg_hi:[0,0,1]
	s_mov_b32 s1, 0xb5ac388b
	v_pk_mul_f16 v15, v25, s6 op_sel_hi:[0,1]
	v_add_f16_e32 v39, v39, v20
	v_sub_f16_e32 v11, v11, v22
	v_pk_add_f16 v9, v6, v9 op_sel_hi:[0,1]
	v_pk_fma_f16 v22, v19, s1, v15 op_sel_hi:[0,1,1] neg_lo:[0,0,1] neg_hi:[0,0,1]
	s_mov_b32 s7, 0xb3a8bbf1
	v_add_f16_e32 v39, v39, v21
	v_add_f16_e32 v20, v20, v30
	v_pk_add_f16 v9, v9, v22
	s_mov_b32 s6, 0xbbc42fb7
	v_pk_mul_f16 v22, v11, s7 op_sel_hi:[0,1]
	v_add_f16_e32 v39, v39, v23
	v_sub_f16_e32 v12, v12, v17
	v_add_f16_e32 v17, v23, v28
	v_pk_fma_f16 v23, v20, s6, v22 op_sel_hi:[0,1,1] neg_lo:[0,0,1] neg_hi:[0,0,1]
	s_mov_b32 s8, 0x394ebb7b
	v_add_f16_e32 v21, v21, v29
	v_pk_add_f16 v9, v9, v23
	s_mov_b32 s7, 0xb9fdb5ac
	v_pk_mul_f16 v23, v12, s8 op_sel_hi:[0,1]
	v_pk_fma_f16 v10, v18, s0, v10 op_sel_hi:[0,1,1]
	v_add_f16_e32 v39, v39, v24
	v_sub_f16_e32 v13, v13, v16
	v_add_f16_e32 v16, v24, v26
	v_pk_fma_f16 v24, v21, s7, v23 op_sel_hi:[0,1,1] neg_lo:[0,0,1] neg_hi:[0,0,1]
	s_mov_b32 s9, 0x3bf1b94e
	v_pk_add_f16 v10, v6, v10 op_sel_hi:[0,1]
	v_pk_fma_f16 v15, v19, s1, v15 op_sel_hi:[0,1,1]
	v_pk_add_f16 v9, v9, v24
	s_mov_b32 s8, 0x2fb7b9fd
	v_pk_mul_f16 v24, v13, s9 op_sel_hi:[0,1]
	v_pk_add_f16 v10, v10, v15
	v_pk_fma_f16 v15, v20, s6, v22 op_sel_hi:[0,1,1]
	v_add_f16_e32 v39, v39, v26
	v_pk_fma_f16 v26, v17, s8, v24 op_sel_hi:[0,1,1] neg_lo:[0,0,1] neg_hi:[0,0,1]
	s_mov_b32 s14, 0x3770b3a8
	v_pk_add_f16 v10, v10, v15
	v_pk_fma_f16 v15, v21, s7, v23 op_sel_hi:[0,1,1]
	v_pk_add_f16 v9, v9, v26
	s_mov_b32 s9, 0x3b15bbc4
	v_pk_mul_f16 v26, v14, s14 op_sel_hi:[0,1]
	v_pk_add_f16 v10, v10, v15
	v_pk_fma_f16 v15, v17, s8, v24 op_sel_hi:[0,1,1]
	s_mov_b32 s1, 0xbb7bbbf1
	v_pk_add_f16 v10, v10, v15
	v_pk_fma_f16 v15, v16, s9, v26 op_sel_hi:[0,1,1]
	s_mov_b32 s0, 0xb5ac2fb7
	v_pk_mul_f16 v22, v27, s1 op_sel_hi:[0,1]
	s_mov_b32 s6, 0x394eb3a8
	v_pk_add_f16 v15, v15, v10
	v_pk_fma_f16 v10, v18, s0, v22 op_sel_hi:[0,1,1] neg_lo:[0,0,1] neg_hi:[0,0,1]
	s_mov_b32 s1, 0xb9fdbbc4
	v_pk_mul_f16 v23, v25, s6 op_sel_hi:[0,1]
	v_pk_add_f16 v10, v6, v10 op_sel_hi:[0,1]
	v_pk_fma_f16 v24, v19, s1, v23 op_sel_hi:[0,1,1] neg_lo:[0,0,1] neg_hi:[0,0,1]
	s_mov_b32 s7, 0x37703b7b
	v_pk_add_f16 v10, v10, v24
	s_mov_b32 s6, 0x3b15b5ac
	v_pk_mul_f16 v24, v11, s7 op_sel_hi:[0,1]
	v_add_f16_e32 v39, v39, v28
	v_pk_fma_f16 v28, v16, s9, v26 op_sel_hi:[0,1,1] neg_lo:[0,0,1] neg_hi:[0,0,1]
	v_pk_fma_f16 v26, v20, s6, v24 op_sel_hi:[0,1,1] neg_lo:[0,0,1] neg_hi:[0,0,1]
	s_mov_b32 s8, 0xbbf13770
	v_pk_add_f16 v10, v10, v26
	s_mov_b32 s7, 0x2fb73b15
	v_pk_mul_f16 v26, v12, s8 op_sel_hi:[0,1]
	v_pk_fma_f16 v22, v18, s0, v22 op_sel_hi:[0,1,1]
	v_pk_add_f16 v9, v28, v9
	v_pk_fma_f16 v28, v21, s7, v26 op_sel_hi:[0,1,1] neg_lo:[0,0,1] neg_hi:[0,0,1]
	s_mov_b32 s9, 0x33a8ba95
	v_pk_add_f16 v22, v6, v22 op_sel_hi:[0,1]
	v_pk_fma_f16 v23, v19, s1, v23 op_sel_hi:[0,1,1]
	v_pk_add_f16 v10, v10, v28
	s_mov_b32 s8, 0xbbc4388b
	v_pk_mul_f16 v28, v13, s9 op_sel_hi:[0,1]
	v_pk_add_f16 v22, v22, v23
	v_pk_fma_f16 v23, v20, s6, v24 op_sel_hi:[0,1,1]
	v_add_f16_e32 v39, v29, v39
	v_pk_fma_f16 v29, v17, s8, v28 op_sel_hi:[0,1,1] neg_lo:[0,0,1] neg_hi:[0,0,1]
	s_mov_b32 s14, 0x3a95b94e
	v_pk_add_f16 v22, v22, v23
	v_pk_fma_f16 v23, v21, s7, v26 op_sel_hi:[0,1,1]
	v_pk_add_f16 v10, v10, v29
	s_mov_b32 s9, 0x388bb9fd
	v_pk_mul_f16 v29, v14, s14 op_sel_hi:[0,1]
	v_pk_add_f16 v22, v22, v23
	v_pk_fma_f16 v23, v17, s8, v28 op_sel_hi:[0,1,1]
	v_pk_add_f16 v22, v22, v23
	v_pk_fma_f16 v23, v16, s9, v29 op_sel_hi:[0,1,1]
	s_mov_b32 s1, 0xb3a8b94e
	v_pk_add_f16 v22, v23, v22
	s_mov_b32 s0, 0xbbc4b9fd
	v_pk_mul_f16 v23, v27, s1 op_sel_hi:[0,1]
	s_mov_b32 s6, 0x37703bf1
	v_pk_fma_f16 v24, v18, s0, v23 op_sel_hi:[0,1,1] neg_lo:[0,0,1] neg_hi:[0,0,1]
	s_mov_b32 s1, 0x3b152fb7
	v_pk_mul_f16 v25, v25, s6 op_sel_hi:[0,1]
	v_pk_add_f16 v24, v6, v24 op_sel_hi:[0,1]
	v_pk_fma_f16 v26, v19, s1, v25 op_sel_hi:[0,1,1] neg_lo:[0,0,1] neg_hi:[0,0,1]
	s_mov_b32 s7, 0xb94eba95
	v_pk_fma_f16 v18, v18, s0, v23 op_sel_hi:[0,1,1]
	v_pk_add_f16 v24, v24, v26
	s_mov_b32 s6, 0xb9fd388b
	v_pk_mul_f16 v26, v11, s7 op_sel_hi:[0,1]
	s_mov_b32 s8, 0x3a9533a8
	v_pk_add_f16 v6, v6, v18 op_sel_hi:[0,1]
	v_pk_fma_f16 v18, v19, s1, v25 op_sel_hi:[0,1,1]
	v_add_f16_e32 v39, v30, v39
	v_pk_fma_f16 v30, v16, s9, v29 op_sel_hi:[0,1,1] neg_lo:[0,0,1] neg_hi:[0,0,1]
	v_pk_fma_f16 v11, v20, s6, v26 op_sel_hi:[0,1,1] neg_lo:[0,0,1] neg_hi:[0,0,1]
	s_mov_b32 s7, 0x388bbbc4
	v_pk_mul_f16 v12, v12, s8 op_sel_hi:[0,1]
	s_mov_b32 s9, 0xbb7b3770
	v_pk_add_f16 v6, v6, v18
	v_pk_fma_f16 v18, v20, s6, v26 op_sel_hi:[0,1,1]
	v_pk_add_f16 v11, v24, v11
	v_pk_fma_f16 v24, v21, s7, v12 op_sel_hi:[0,1,1] neg_lo:[0,0,1] neg_hi:[0,0,1]
	s_mov_b32 s8, 0xb5ac3b15
	v_pk_mul_f16 v13, v13, s9 op_sel_hi:[0,1]
	s_mov_b32 s14, 0x3bf1bb7b
	v_pk_add_f16 v6, v6, v18
	v_pk_fma_f16 v12, v21, s7, v12 op_sel_hi:[0,1,1]
	s_mov_b32 s9, 0x2fb7b5ac
	v_pk_mul_f16 v14, v14, s14 op_sel_hi:[0,1]
	v_pk_add_f16 v6, v6, v12
	v_pk_fma_f16 v12, v17, s8, v13 op_sel_hi:[0,1,1]
	v_pk_add_f16 v11, v11, v24
	v_pk_fma_f16 v24, v17, s8, v13 op_sel_hi:[0,1,1] neg_lo:[0,0,1] neg_hi:[0,0,1]
	v_pk_add_f16 v6, v6, v12
	v_pk_fma_f16 v12, v16, s9, v14 op_sel_hi:[0,1,1]
	v_pk_add_f16 v11, v11, v24
	v_pk_fma_f16 v24, v16, s9, v14 op_sel_hi:[0,1,1] neg_lo:[0,0,1] neg_hi:[0,0,1]
	v_pk_add_f16 v6, v12, v6
	v_add_f16_e32 v39, v31, v39
	v_pk_add_f16 v10, v30, v10
	v_pk_add_f16 v11, v24, v11
	v_mad_u32_u24 v13, v5, 24, v0
	v_alignbit_b32 v12, v6, v6, 16
	v_add_f16_e32 v39, v32, v39
	ds_write_b128 v13, v[9:12] offset:2
	v_alignbit_b32 v9, v22, v22, 16
	v_alignbit_b32 v10, v15, v15, 16
	ds_write_b16 v13, v39
	ds_write_b64 v13, v[9:10] offset:18
.LBB0_15:
	s_or_b64 exec, exec, s[2:3]
	s_movk_i32 s0, 0x4f
	v_add_u16_e32 v15, 0x68, v5
	v_add_u32_e32 v11, 0xd0, v5
	v_mul_lo_u16_sdwa v6, v5, s0 dst_sel:DWORD dst_unused:UNUSED_PAD src0_sel:BYTE_0 src1_sel:DWORD
	v_mul_lo_u16_sdwa v16, v15, s0 dst_sel:DWORD dst_unused:UNUSED_PAD src0_sel:BYTE_0 src1_sel:DWORD
	s_movk_i32 s0, 0x4ec5
	v_add_u32_e32 v10, 0x138, v5
	v_lshrrev_b16_e32 v9, 10, v6
	v_lshrrev_b16_e32 v17, 10, v16
	v_mul_u32_u24_sdwa v20, v11, s0 dst_sel:DWORD dst_unused:UNUSED_PAD src0_sel:WORD_0 src1_sel:DWORD
	v_mul_lo_u16_e32 v12, 13, v9
	v_mul_lo_u16_e32 v18, 13, v17
	v_lshrrev_b32_e32 v21, 18, v20
	v_mul_u32_u24_sdwa v24, v10, s0 dst_sel:DWORD dst_unused:UNUSED_PAD src0_sel:WORD_0 src1_sel:DWORD
	v_sub_u16_e32 v12, v5, v12
	v_mov_b32_e32 v13, 2
	v_sub_u16_e32 v18, v15, v18
	v_mul_lo_u16_e32 v22, 13, v21
	v_lshrrev_b32_e32 v25, 18, v24
	v_lshlrev_b32_sdwa v14, v13, v12 dst_sel:DWORD dst_unused:UNUSED_PAD src0_sel:DWORD src1_sel:BYTE_0
	v_lshlrev_b32_sdwa v19, v13, v18 dst_sel:DWORD dst_unused:UNUSED_PAD src0_sel:DWORD src1_sel:BYTE_0
	v_sub_u16_e32 v22, v11, v22
	v_mul_lo_u16_e32 v26, 13, v25
	s_load_dwordx2 s[2:3], s[4:5], 0x0
	s_waitcnt lgkmcnt(0)
	s_barrier
	v_lshlrev_b32_e32 v23, 2, v22
	global_load_dword v14, v14, s[12:13]
	v_sub_u16_e32 v26, v10, v26
	global_load_dword v19, v19, s[12:13]
	v_lshlrev_b32_e32 v27, 2, v26
	global_load_dword v23, v23, s[12:13]
	v_mov_b32_e32 v42, 1
	global_load_dword v27, v27, s[12:13]
	ds_read_u16 v28, v0
	ds_read_u16 v29, v0 offset:208
	ds_read_u16 v30, v0 offset:416
	;; [unrolled: 1-line block ×7, first 2 shown]
	v_mul_u32_u24_e32 v9, 52, v9
	v_mul_u32_u24_e32 v17, 52, v17
	;; [unrolled: 1-line block ×3, first 2 shown]
	v_lshlrev_b32_sdwa v12, v42, v12 dst_sel:DWORD dst_unused:UNUSED_PAD src0_sel:DWORD src1_sel:BYTE_0
	v_lshlrev_b32_sdwa v18, v42, v18 dst_sel:DWORD dst_unused:UNUSED_PAD src0_sel:DWORD src1_sel:BYTE_0
	v_lshlrev_b32_e32 v22, 1, v22
	v_add3_u32 v9, 0, v9, v12
	v_add3_u32 v12, 0, v17, v18
	;; [unrolled: 1-line block ×3, first 2 shown]
	s_waitcnt vmcnt(0) lgkmcnt(0)
	s_barrier
	v_lshrrev_b16_e32 v6, 11, v6
	v_cmp_gt_u32_e64 s[0:1], 52, v5
	v_mul_f16_sdwa v18, v40, v14 dst_sel:DWORD dst_unused:UNUSED_PAD src0_sel:DWORD src1_sel:WORD_1
	v_mul_f16_sdwa v21, v38, v14 dst_sel:DWORD dst_unused:UNUSED_PAD src0_sel:DWORD src1_sel:WORD_1
	;; [unrolled: 1-line block ×3, first 2 shown]
	v_fma_f16 v18, v38, v14, v18
	v_mul_f16_sdwa v44, v32, v23 dst_sel:DWORD dst_unused:UNUSED_PAD src0_sel:DWORD src1_sel:WORD_1
	v_fma_f16 v14, v40, v14, -v21
	v_fma_f16 v21, v37, v19, v22
	v_mul_f16_sdwa v43, v37, v19 dst_sel:DWORD dst_unused:UNUSED_PAD src0_sel:DWORD src1_sel:WORD_1
	v_mul_f16_sdwa v46, v39, v27 dst_sel:DWORD dst_unused:UNUSED_PAD src0_sel:DWORD src1_sel:WORD_1
	v_fma_f16 v22, v35, v23, v44
	v_sub_f16_e32 v18, v7, v18
	v_sub_f16_e32 v21, v8, v21
	v_mul_f16_sdwa v45, v35, v23 dst_sel:DWORD dst_unused:UNUSED_PAD src0_sel:DWORD src1_sel:WORD_1
	v_mul_f16_sdwa v47, v36, v27 dst_sel:DWORD dst_unused:UNUSED_PAD src0_sel:DWORD src1_sel:WORD_1
	v_fma_f16 v19, v31, v19, -v43
	v_fma_f16 v31, v36, v27, v46
	v_sub_f16_e32 v22, v33, v22
	v_fma_f16 v7, v7, 2.0, -v18
	v_fma_f16 v8, v8, 2.0, -v21
	v_fma_f16 v23, v32, v23, -v45
	v_fma_f16 v27, v39, v27, -v47
	v_sub_f16_e32 v14, v28, v14
	v_sub_f16_e32 v31, v34, v31
	v_fma_f16 v32, v33, 2.0, -v22
	ds_write_b16 v9, v18 offset:26
	ds_write_b16 v9, v7
	ds_write_b16 v12, v8
	ds_write_b16 v12, v21 offset:26
	ds_write_b16 v17, v32
	ds_write_b16 v17, v22 offset:26
	v_mul_u32_u24_e32 v7, 52, v25
	v_lshlrev_b32_e32 v8, 1, v26
	v_sub_f16_e32 v19, v29, v19
	v_sub_f16_e32 v23, v30, v23
	;; [unrolled: 1-line block ×3, first 2 shown]
	v_fma_f16 v28, v28, 2.0, -v14
	v_fma_f16 v33, v34, 2.0, -v31
	v_add3_u32 v7, 0, v7, v8
	v_fma_f16 v29, v29, 2.0, -v19
	v_fma_f16 v30, v30, 2.0, -v23
	;; [unrolled: 1-line block ×3, first 2 shown]
	ds_write_b16 v7, v33
	ds_write_b16 v7, v31 offset:26
	s_waitcnt lgkmcnt(0)
	s_barrier
	ds_read_u16 v8, v0
	ds_read_u16 v18, v0 offset:208
	ds_read_u16 v21, v0 offset:416
	;; [unrolled: 1-line block ×7, first 2 shown]
	s_waitcnt lgkmcnt(0)
	s_barrier
	ds_write_b16 v9, v28
	ds_write_b16 v9, v14 offset:26
	ds_write_b16 v12, v29
	ds_write_b16 v12, v19 offset:26
	;; [unrolled: 2-line block ×4, first 2 shown]
	v_mul_lo_u16_e32 v7, 26, v6
	v_sub_u16_e32 v7, v5, v7
	v_lshlrev_b32_sdwa v9, v13, v7 dst_sel:DWORD dst_unused:UNUSED_PAD src0_sel:DWORD src1_sel:BYTE_0
	s_waitcnt lgkmcnt(0)
	s_barrier
	v_lshrrev_b16_e32 v12, 11, v16
	v_lshrrev_b32_e32 v19, 19, v20
	v_lshrrev_b32_e32 v28, 19, v24
	global_load_dword v9, v9, s[12:13] offset:52
	v_mul_lo_u16_e32 v14, 26, v12
	v_mul_lo_u16_e32 v23, 26, v19
	v_mul_lo_u16_e32 v29, 26, v28
	v_sub_u16_e32 v14, v15, v14
	v_sub_u16_e32 v23, v11, v23
	;; [unrolled: 1-line block ×3, first 2 shown]
	v_lshlrev_b32_sdwa v17, v13, v14 dst_sel:DWORD dst_unused:UNUSED_PAD src0_sel:DWORD src1_sel:BYTE_0
	global_load_dword v17, v17, s[12:13] offset:52
	v_lshlrev_b32_e32 v27, 2, v23
	global_load_dword v27, v27, s[12:13] offset:52
	v_lshlrev_b32_e32 v30, 2, v29
	global_load_dword v30, v30, s[12:13] offset:52
	ds_read_u16 v33, v0
	ds_read_u16 v34, v0 offset:208
	ds_read_u16 v35, v0 offset:416
	;; [unrolled: 1-line block ×7, first 2 shown]
	v_mul_u32_u24_e32 v6, 0x68, v6
	v_lshlrev_b32_sdwa v7, v42, v7 dst_sel:DWORD dst_unused:UNUSED_PAD src0_sel:DWORD src1_sel:BYTE_0
	v_add3_u32 v6, 0, v6, v7
	s_waitcnt vmcnt(0) lgkmcnt(0)
	s_barrier
	v_mul_u32_u24_e32 v7, 0x68, v12
	v_lshlrev_b32_e32 v12, 1, v23
	v_lshrrev_b16_e32 v16, 12, v16
	v_mul_f16_sdwa v41, v36, v9 dst_sel:DWORD dst_unused:UNUSED_PAD src0_sel:DWORD src1_sel:WORD_1
	v_mul_f16_sdwa v43, v31, v9 dst_sel:DWORD dst_unused:UNUSED_PAD src0_sel:DWORD src1_sel:WORD_1
	v_fma_f16 v31, v31, v9, v41
	v_sub_f16_e32 v31, v8, v31
	v_fma_f16 v8, v8, 2.0, -v31
	ds_write_b16 v6, v8
	ds_write_b16 v6, v31 offset:52
	v_lshlrev_b32_sdwa v8, v42, v14 dst_sel:DWORD dst_unused:UNUSED_PAD src0_sel:DWORD src1_sel:BYTE_0
	v_fma_f16 v9, v36, v9, -v43
	v_mul_f16_sdwa v44, v37, v17 dst_sel:DWORD dst_unused:UNUSED_PAD src0_sel:DWORD src1_sel:WORD_1
	v_mul_f16_sdwa v45, v22, v17 dst_sel:DWORD dst_unused:UNUSED_PAD src0_sel:DWORD src1_sel:WORD_1
	;; [unrolled: 1-line block ×6, first 2 shown]
	v_fma_f16 v22, v22, v17, v44
	v_fma_f16 v25, v25, v27, v46
	;; [unrolled: 1-line block ×3, first 2 shown]
	v_add3_u32 v7, 0, v7, v8
	v_mul_u32_u24_e32 v8, 0x68, v19
	v_fma_f16 v17, v37, v17, -v45
	v_fma_f16 v27, v38, v27, -v47
	;; [unrolled: 1-line block ×3, first 2 shown]
	v_sub_f16_e32 v9, v33, v9
	v_sub_f16_e32 v22, v18, v22
	;; [unrolled: 1-line block ×4, first 2 shown]
	v_add3_u32 v8, 0, v8, v12
	v_mul_u32_u24_e32 v12, 0x68, v28
	v_lshlrev_b32_e32 v14, 1, v29
	v_sub_f16_e32 v17, v34, v17
	v_fma_f16 v33, v33, 2.0, -v9
	v_fma_f16 v18, v18, 2.0, -v22
	v_sub_f16_e32 v27, v35, v27
	v_fma_f16 v21, v21, 2.0, -v25
	v_sub_f16_e32 v30, v40, v30
	v_fma_f16 v32, v32, 2.0, -v26
	v_add3_u32 v12, 0, v12, v14
	v_fma_f16 v34, v34, 2.0, -v17
	v_fma_f16 v35, v35, 2.0, -v27
	v_fma_f16 v36, v40, 2.0, -v30
	ds_write_b16 v7, v18
	ds_write_b16 v7, v22 offset:52
	ds_write_b16 v8, v21
	ds_write_b16 v8, v25 offset:52
	;; [unrolled: 2-line block ×3, first 2 shown]
	s_waitcnt lgkmcnt(0)
	s_barrier
	ds_read_u16 v14, v0
	ds_read_u16 v18, v0 offset:208
	ds_read_u16 v19, v0 offset:416
	;; [unrolled: 1-line block ×7, first 2 shown]
	s_waitcnt lgkmcnt(0)
	s_barrier
	ds_write_b16 v6, v33
	ds_write_b16 v6, v9 offset:52
	ds_write_b16 v7, v34
	ds_write_b16 v7, v17 offset:52
	;; [unrolled: 2-line block ×4, first 2 shown]
	v_subrev_u32_e32 v6, 52, v5
	v_cndmask_b32_e64 v6, v6, v5, s[0:1]
	v_mov_b32_e32 v7, 0
	v_lshlrev_b64 v[8:9], 2, v[6:7]
	v_mov_b32_e32 v12, s13
	v_add_co_u32_e64 v8, s[0:1], s12, v8
	v_mul_lo_u16_e32 v17, 52, v16
	v_addc_co_u32_e64 v9, s[0:1], v12, v9, s[0:1]
	v_sub_u16_e32 v15, v15, v17
	s_waitcnt lgkmcnt(0)
	s_barrier
	global_load_dword v8, v[8:9], off offset:156
	v_lshlrev_b32_sdwa v9, v13, v15 dst_sel:DWORD dst_unused:UNUSED_PAD src0_sel:DWORD src1_sel:BYTE_0
	v_lshrrev_b32_e32 v13, 20, v20
	v_mul_lo_u16_e32 v17, 52, v13
	global_load_dword v9, v9, s[12:13] offset:156
	v_sub_u16_e32 v17, v11, v17
	v_lshrrev_b32_e32 v28, 20, v24
	v_lshlrev_b32_e32 v27, 2, v17
	global_load_dword v27, v27, s[12:13] offset:156
	v_mul_lo_u16_e32 v29, 52, v28
	v_sub_u16_e32 v29, v10, v29
	v_lshlrev_b32_e32 v30, 2, v29
	global_load_dword v30, v30, s[12:13] offset:156
	ds_read_u16 v31, v0
	ds_read_u16 v32, v0 offset:208
	ds_read_u16 v33, v0 offset:416
	ds_read_u16 v34, v0 offset:832
	ds_read_u16 v35, v0 offset:1040
	ds_read_u16 v36, v0 offset:1248
	ds_read_u16 v37, v0 offset:1456
	ds_read_u16 v38, v0 offset:624
	v_cmp_lt_u32_e64 s[0:1], 51, v5
	v_lshlrev_b32_e32 v6, 1, v6
	s_waitcnt vmcnt(0) lgkmcnt(0)
	s_barrier
	v_lshlrev_b32_sdwa v15, v42, v15 dst_sel:DWORD dst_unused:UNUSED_PAD src0_sel:DWORD src1_sel:BYTE_0
	v_mul_u32_u24_e32 v13, 0xd0, v13
	v_mul_f16_sdwa v39, v34, v8 dst_sel:DWORD dst_unused:UNUSED_PAD src0_sel:DWORD src1_sel:WORD_1
	v_fma_f16 v39, v25, v8, v39
	v_mul_f16_sdwa v25, v25, v8 dst_sel:DWORD dst_unused:UNUSED_PAD src0_sel:DWORD src1_sel:WORD_1
	v_fma_f16 v8, v34, v8, -v25
	v_mul_f16_sdwa v25, v35, v9 dst_sel:DWORD dst_unused:UNUSED_PAD src0_sel:DWORD src1_sel:WORD_1
	v_fma_f16 v25, v21, v9, v25
	v_mul_f16_sdwa v21, v21, v9 dst_sel:DWORD dst_unused:UNUSED_PAD src0_sel:DWORD src1_sel:WORD_1
	v_fma_f16 v9, v35, v9, -v21
	;; [unrolled: 4-line block ×3, first 2 shown]
	v_mul_f16_sdwa v27, v37, v30 dst_sel:DWORD dst_unused:UNUSED_PAD src0_sel:DWORD src1_sel:WORD_1
	v_fma_f16 v27, v23, v30, v27
	v_mul_f16_sdwa v23, v23, v30 dst_sel:DWORD dst_unused:UNUSED_PAD src0_sel:DWORD src1_sel:WORD_1
	v_mov_b32_e32 v35, 0xd0
	v_fma_f16 v23, v37, v30, -v23
	v_sub_f16_e32 v30, v14, v39
	v_cndmask_b32_e64 v35, 0, v35, s[0:1]
	v_fma_f16 v14, v14, 2.0, -v30
	v_add3_u32 v6, 0, v35, v6
	ds_write_b16 v6, v14
	ds_write_b16 v6, v30 offset:104
	v_mul_u32_u24_e32 v14, 0xd0, v16
	v_add3_u32 v14, 0, v14, v15
	v_lshlrev_b32_e32 v15, 1, v17
	v_sub_f16_e32 v8, v31, v8
	v_sub_f16_e32 v25, v18, v25
	;; [unrolled: 1-line block ×4, first 2 shown]
	v_add3_u32 v13, 0, v13, v15
	v_mul_u32_u24_e32 v15, 0xd0, v28
	v_lshlrev_b32_e32 v16, 1, v29
	v_fma_f16 v31, v31, 2.0, -v8
	v_sub_f16_e32 v9, v32, v9
	v_fma_f16 v18, v18, 2.0, -v25
	v_sub_f16_e32 v22, v33, v22
	;; [unrolled: 2-line block ×3, first 2 shown]
	v_fma_f16 v26, v26, 2.0, -v27
	v_add3_u32 v15, 0, v15, v16
	v_fma_f16 v32, v32, 2.0, -v9
	v_fma_f16 v33, v33, 2.0, -v22
	;; [unrolled: 1-line block ×3, first 2 shown]
	ds_write_b16 v14, v18
	ds_write_b16 v14, v25 offset:104
	ds_write_b16 v13, v19
	ds_write_b16 v13, v21 offset:104
	;; [unrolled: 2-line block ×3, first 2 shown]
	s_waitcnt lgkmcnt(0)
	s_barrier
	ds_read_u16 v16, v0
	ds_read_u16 v17, v0 offset:208
	ds_read_u16 v18, v0 offset:416
	;; [unrolled: 1-line block ×7, first 2 shown]
	s_waitcnt lgkmcnt(0)
	s_barrier
	ds_write_b16 v6, v31
	ds_write_b16 v6, v8 offset:104
	ds_write_b16 v14, v32
	ds_write_b16 v14, v9 offset:104
	;; [unrolled: 2-line block ×4, first 2 shown]
	v_mov_b32_e32 v6, v7
	v_lshlrev_b64 v[8:9], 2, v[5:6]
	s_waitcnt lgkmcnt(0)
	v_add_co_u32_e64 v5, s[0:1], s12, v8
	v_addc_co_u32_e64 v6, s[0:1], v12, v9, s[0:1]
	s_barrier
	global_load_dword v12, v[5:6], off offset:364
	v_lshrrev_b32_e32 v13, 21, v20
	v_mul_lo_u16_e32 v13, 0x68, v13
	v_sub_u16_e32 v13, v11, v13
	v_lshrrev_b32_e32 v15, 21, v24
	v_lshlrev_b32_e32 v14, 2, v13
	v_mul_lo_u16_e32 v15, 0x68, v15
	global_load_dword v14, v14, s[12:13] offset:364
	v_sub_u16_e32 v15, v10, v15
	v_lshlrev_b32_e32 v20, 2, v15
	global_load_dword v20, v20, s[12:13] offset:364
	ds_read_u16 v22, v0
	ds_read_u16 v23, v0 offset:208
	ds_read_u16 v24, v0 offset:416
	;; [unrolled: 1-line block ×7, first 2 shown]
	v_lshl_add_u32 v13, v13, 1, 0
	v_lshl_add_u32 v15, v15, 1, 0
	s_waitcnt vmcnt(0) lgkmcnt(0)
	s_barrier
	v_mul_f16_sdwa v33, v28, v12 dst_sel:DWORD dst_unused:UNUSED_PAD src0_sel:DWORD src1_sel:WORD_1
	v_fma_f16 v33, v26, v12, v33
	v_mul_f16_sdwa v26, v26, v12 dst_sel:DWORD dst_unused:UNUSED_PAD src0_sel:DWORD src1_sel:WORD_1
	v_fma_f16 v26, v28, v12, -v26
	v_mul_f16_sdwa v28, v29, v12 dst_sel:DWORD dst_unused:UNUSED_PAD src0_sel:DWORD src1_sel:WORD_1
	v_fma_f16 v28, v19, v12, v28
	v_mul_f16_sdwa v19, v19, v12 dst_sel:DWORD dst_unused:UNUSED_PAD src0_sel:DWORD src1_sel:WORD_1
	v_fma_f16 v12, v29, v12, -v19
	;; [unrolled: 4-line block ×4, first 2 shown]
	v_sub_f16_e32 v25, v16, v33
	v_sub_f16_e32 v26, v22, v26
	;; [unrolled: 1-line block ×5, first 2 shown]
	v_fma_f16 v16, v16, 2.0, -v25
	v_fma_f16 v22, v22, 2.0, -v26
	v_sub_f16_e32 v12, v23, v12
	v_fma_f16 v17, v17, 2.0, -v28
	v_sub_f16_e32 v14, v24, v14
	;; [unrolled: 2-line block ×3, first 2 shown]
	v_fma_f16 v27, v27, 2.0, -v21
	v_fma_f16 v23, v23, 2.0, -v12
	;; [unrolled: 1-line block ×4, first 2 shown]
	ds_write_b16 v0, v16
	ds_write_b16 v0, v25 offset:208
	ds_write_b16 v0, v17 offset:416
	;; [unrolled: 1-line block ×7, first 2 shown]
	s_waitcnt lgkmcnt(0)
	s_barrier
	ds_read_u16 v16, v0
	ds_read_u16 v17, v0 offset:208
	ds_read_u16 v18, v0 offset:416
	;; [unrolled: 1-line block ×7, first 2 shown]
	s_waitcnt lgkmcnt(0)
	s_barrier
	ds_write_b16 v0, v22
	ds_write_b16 v0, v26 offset:208
	ds_write_b16 v0, v23 offset:416
	;; [unrolled: 1-line block ×7, first 2 shown]
	s_waitcnt lgkmcnt(0)
	s_barrier
	global_load_dword v12, v[5:6], off offset:780
	global_load_dword v13, v[5:6], off offset:1196
	ds_read_u16 v14, v0
	ds_read_u16 v15, v0 offset:208
	ds_read_u16 v20, v0 offset:416
	;; [unrolled: 1-line block ×7, first 2 shown]
	s_waitcnt vmcnt(0) lgkmcnt(0)
	s_barrier
	v_mul_f16_sdwa v30, v22, v12 dst_sel:DWORD dst_unused:UNUSED_PAD src0_sel:DWORD src1_sel:WORD_1
	v_fma_f16 v30, v27, v12, v30
	v_mul_f16_sdwa v27, v27, v12 dst_sel:DWORD dst_unused:UNUSED_PAD src0_sel:DWORD src1_sel:WORD_1
	v_fma_f16 v22, v22, v12, -v27
	v_mul_f16_sdwa v27, v23, v13 dst_sel:DWORD dst_unused:UNUSED_PAD src0_sel:DWORD src1_sel:WORD_1
	v_fma_f16 v27, v19, v13, v27
	v_mul_f16_sdwa v19, v19, v13 dst_sel:DWORD dst_unused:UNUSED_PAD src0_sel:DWORD src1_sel:WORD_1
	v_fma_f16 v19, v23, v13, -v19
	;; [unrolled: 4-line block ×3, first 2 shown]
	v_mul_f16_sdwa v21, v26, v13 dst_sel:DWORD dst_unused:UNUSED_PAD src0_sel:DWORD src1_sel:WORD_1
	v_mul_f16_sdwa v24, v25, v13 dst_sel:DWORD dst_unused:UNUSED_PAD src0_sel:DWORD src1_sel:WORD_1
	v_fma_f16 v21, v25, v13, v21
	v_fma_f16 v13, v26, v13, -v24
	v_sub_f16_e32 v22, v14, v22
	v_sub_f16_e32 v26, v15, v19
	v_fma_f16 v25, v14, 2.0, -v22
	v_sub_f16_e32 v14, v17, v27
	v_fma_f16 v27, v15, 2.0, -v26
	v_sub_f16_e32 v15, v18, v23
	v_sub_f16_e32 v24, v16, v30
	;; [unrolled: 1-line block ×3, first 2 shown]
	v_fma_f16 v12, v18, 2.0, -v15
	v_sub_f16_e32 v18, v28, v21
	v_fma_f16 v16, v16, 2.0, -v24
	v_fma_f16 v17, v17, 2.0, -v14
	v_sub_f16_e32 v21, v29, v13
	v_fma_f16 v13, v28, 2.0, -v18
	ds_write_b16 v0, v16
	ds_write_b16 v0, v24 offset:416
	ds_write_b16 v0, v17 offset:208
	;; [unrolled: 1-line block ×7, first 2 shown]
	s_waitcnt lgkmcnt(0)
	s_barrier
	ds_read_u16 v12, v0
	ds_read_u16 v13, v0 offset:208
	ds_read_u16 v14, v0 offset:416
	ds_read_u16 v16, v0 offset:1040
	ds_read_u16 v18, v0 offset:1248
	ds_read_u16 v19, v0 offset:1456
	ds_read_u16 v17, v0 offset:832
	ds_read_u16 v15, v0 offset:624
	v_fma_f16 v20, v20, 2.0, -v23
	v_fma_f16 v28, v29, 2.0, -v21
	s_waitcnt lgkmcnt(0)
	s_barrier
	ds_write_b16 v0, v25
	ds_write_b16 v0, v22 offset:416
	ds_write_b16 v0, v27 offset:208
	ds_write_b16 v0, v26 offset:624
	ds_write_b16 v0, v20 offset:832
	ds_write_b16 v0, v23 offset:1248
	ds_write_b16 v0, v28 offset:1040
	ds_write_b16 v0, v21 offset:1456
	s_waitcnt lgkmcnt(0)
	s_barrier
	s_and_saveexec_b64 s[0:1], vcc
	s_cbranch_execz .LBB0_17
; %bb.16:
	global_load_dword v20, v[5:6], off offset:2860
	global_load_dword v21, v[5:6], off offset:2444
	global_load_dword v22, v[5:6], off offset:2028
	global_load_dword v23, v[5:6], off offset:1612
	v_mul_lo_u32 v5, s3, v3
	v_mul_lo_u32 v6, s2, v4
	v_mad_u64_u32 v[3:4], s[0:1], s2, v3, 0
	s_mov_b32 s0, 0x4ec4ec4f
	v_mul_hi_u32 v11, v11, s0
	v_add3_u32 v4, v4, v6, v5
	ds_read_u16 v24, v0 offset:1456
	ds_read_u16 v25, v0 offset:1248
	ds_read_u16 v26, v0 offset:1040
	ds_read_u16 v27, v0 offset:832
	ds_read_u16 v28, v0 offset:624
	ds_read_u16 v29, v0 offset:416
	ds_read_u16 v30, v0 offset:208
	ds_read_u16 v31, v0
	v_lshlrev_b64 v[0:1], 2, v[1:2]
	v_lshlrev_b64 v[2:3], 2, v[3:4]
	v_lshrrev_b32_e32 v4, 7, v11
	v_mov_b32_e32 v32, s11
	v_mul_u32_u24_e32 v6, 0x1a0, v4
	v_add_co_u32_e32 v4, vcc, s10, v2
	v_addc_co_u32_e32 v5, vcc, v32, v3, vcc
	v_add_co_u32_e32 v0, vcc, v4, v0
	v_addc_co_u32_e32 v1, vcc, v5, v1, vcc
	v_add_co_u32_e32 v0, vcc, v0, v8
	v_lshlrev_b64 v[2:3], 2, v[6:7]
	v_addc_co_u32_e32 v1, vcc, v1, v9, vcc
	v_mul_hi_u32 v10, v10, s0
	v_add_co_u32_e32 v2, vcc, v0, v2
	v_addc_co_u32_e32 v3, vcc, v1, v3, vcc
	s_waitcnt vmcnt(3)
	v_lshrrev_b32_e32 v4, 16, v20
	s_waitcnt vmcnt(2)
	v_lshrrev_b32_e32 v6, 16, v21
	v_mul_f16_e32 v8, v18, v21
	s_waitcnt vmcnt(0)
	v_lshrrev_b32_e32 v32, 16, v23
	v_lshrrev_b32_e32 v9, 16, v22
	v_mul_f16_e32 v11, v16, v22
	v_mul_f16_e32 v33, v17, v23
	v_mul_f16_e32 v17, v17, v32
	s_waitcnt lgkmcnt(6)
	v_fma_f16 v8, v25, v6, v8
	v_mul_f16_e32 v6, v18, v6
	s_waitcnt lgkmcnt(5)
	v_fma_f16 v11, v26, v9, v11
	v_mul_f16_e32 v9, v16, v9
	s_waitcnt lgkmcnt(4)
	v_fma_f16 v16, v27, v32, v33
	v_fma_f16 v17, v27, v23, -v17
	v_mul_f16_e32 v5, v19, v20
	v_fma_f16 v6, v25, v21, -v6
	v_fma_f16 v9, v26, v22, -v9
	v_sub_f16_e32 v16, v12, v16
	s_waitcnt lgkmcnt(0)
	v_sub_f16_e32 v17, v31, v17
	v_fma_f16 v5, v24, v4, v5
	v_mul_f16_e32 v4, v19, v4
	v_sub_f16_e32 v8, v14, v8
	v_sub_f16_e32 v11, v13, v11
	;; [unrolled: 1-line block ×4, first 2 shown]
	v_fma_f16 v12, v12, 2.0, -v16
	v_fma_f16 v21, v31, 2.0, -v17
	v_fma_f16 v4, v24, v20, -v4
	v_fma_f16 v14, v14, 2.0, -v8
	v_fma_f16 v13, v13, 2.0, -v11
	;; [unrolled: 1-line block ×4, first 2 shown]
	v_pack_b32_f16 v16, v16, v17
	v_pack_b32_f16 v9, v11, v9
	;; [unrolled: 1-line block ×4, first 2 shown]
	global_store_dword v[0:1], v16, off offset:1664
	v_pack_b32_f16 v12, v13, v20
	global_store_dword v[0:1], v9, off offset:2080
	v_pack_b32_f16 v9, v14, v19
	global_store_dword v[0:1], v11, off
	global_store_dword v[0:1], v12, off offset:416
	global_store_dword v[2:3], v9, off offset:832
	;; [unrolled: 1-line block ×3, first 2 shown]
	v_lshrrev_b32_e32 v2, 7, v10
	v_mul_u32_u24_e32 v6, 0x1a0, v2
	v_lshlrev_b64 v[2:3], 2, v[6:7]
	v_sub_f16_e32 v5, v15, v5
	v_sub_f16_e32 v4, v28, v4
	v_fma_f16 v15, v15, 2.0, -v5
	v_fma_f16 v18, v28, 2.0, -v4
	v_add_co_u32_e32 v0, vcc, v0, v2
	v_addc_co_u32_e32 v1, vcc, v1, v3, vcc
	v_pack_b32_f16 v2, v15, v18
	global_store_dword v[0:1], v2, off offset:1248
	v_pack_b32_f16 v2, v5, v4
	global_store_dword v[0:1], v2, off offset:2912
.LBB0_17:
	s_endpgm
	.section	.rodata,"a",@progbits
	.p2align	6, 0x0
	.amdhsa_kernel fft_rtc_back_len832_factors_13_2_2_2_2_2_2_wgs_104_tpt_104_halfLds_half_op_CI_CI_unitstride_sbrr_dirReg
		.amdhsa_group_segment_fixed_size 0
		.amdhsa_private_segment_fixed_size 0
		.amdhsa_kernarg_size 104
		.amdhsa_user_sgpr_count 6
		.amdhsa_user_sgpr_private_segment_buffer 1
		.amdhsa_user_sgpr_dispatch_ptr 0
		.amdhsa_user_sgpr_queue_ptr 0
		.amdhsa_user_sgpr_kernarg_segment_ptr 1
		.amdhsa_user_sgpr_dispatch_id 0
		.amdhsa_user_sgpr_flat_scratch_init 0
		.amdhsa_user_sgpr_private_segment_size 0
		.amdhsa_uses_dynamic_stack 0
		.amdhsa_system_sgpr_private_segment_wavefront_offset 0
		.amdhsa_system_sgpr_workgroup_id_x 1
		.amdhsa_system_sgpr_workgroup_id_y 0
		.amdhsa_system_sgpr_workgroup_id_z 0
		.amdhsa_system_sgpr_workgroup_info 0
		.amdhsa_system_vgpr_workitem_id 0
		.amdhsa_next_free_vgpr 59
		.amdhsa_next_free_sgpr 29
		.amdhsa_reserve_vcc 1
		.amdhsa_reserve_flat_scratch 0
		.amdhsa_float_round_mode_32 0
		.amdhsa_float_round_mode_16_64 0
		.amdhsa_float_denorm_mode_32 3
		.amdhsa_float_denorm_mode_16_64 3
		.amdhsa_dx10_clamp 1
		.amdhsa_ieee_mode 1
		.amdhsa_fp16_overflow 0
		.amdhsa_exception_fp_ieee_invalid_op 0
		.amdhsa_exception_fp_denorm_src 0
		.amdhsa_exception_fp_ieee_div_zero 0
		.amdhsa_exception_fp_ieee_overflow 0
		.amdhsa_exception_fp_ieee_underflow 0
		.amdhsa_exception_fp_ieee_inexact 0
		.amdhsa_exception_int_div_zero 0
	.end_amdhsa_kernel
	.text
.Lfunc_end0:
	.size	fft_rtc_back_len832_factors_13_2_2_2_2_2_2_wgs_104_tpt_104_halfLds_half_op_CI_CI_unitstride_sbrr_dirReg, .Lfunc_end0-fft_rtc_back_len832_factors_13_2_2_2_2_2_2_wgs_104_tpt_104_halfLds_half_op_CI_CI_unitstride_sbrr_dirReg
                                        ; -- End function
	.section	.AMDGPU.csdata,"",@progbits
; Kernel info:
; codeLenInByte = 7948
; NumSgprs: 33
; NumVgprs: 59
; ScratchSize: 0
; MemoryBound: 0
; FloatMode: 240
; IeeeMode: 1
; LDSByteSize: 0 bytes/workgroup (compile time only)
; SGPRBlocks: 4
; VGPRBlocks: 14
; NumSGPRsForWavesPerEU: 33
; NumVGPRsForWavesPerEU: 59
; Occupancy: 4
; WaveLimiterHint : 1
; COMPUTE_PGM_RSRC2:SCRATCH_EN: 0
; COMPUTE_PGM_RSRC2:USER_SGPR: 6
; COMPUTE_PGM_RSRC2:TRAP_HANDLER: 0
; COMPUTE_PGM_RSRC2:TGID_X_EN: 1
; COMPUTE_PGM_RSRC2:TGID_Y_EN: 0
; COMPUTE_PGM_RSRC2:TGID_Z_EN: 0
; COMPUTE_PGM_RSRC2:TIDIG_COMP_CNT: 0
	.type	__hip_cuid_fd61c51d2afbc2d2,@object ; @__hip_cuid_fd61c51d2afbc2d2
	.section	.bss,"aw",@nobits
	.globl	__hip_cuid_fd61c51d2afbc2d2
__hip_cuid_fd61c51d2afbc2d2:
	.byte	0                               ; 0x0
	.size	__hip_cuid_fd61c51d2afbc2d2, 1

	.ident	"AMD clang version 19.0.0git (https://github.com/RadeonOpenCompute/llvm-project roc-6.4.0 25133 c7fe45cf4b819c5991fe208aaa96edf142730f1d)"
	.section	".note.GNU-stack","",@progbits
	.addrsig
	.addrsig_sym __hip_cuid_fd61c51d2afbc2d2
	.amdgpu_metadata
---
amdhsa.kernels:
  - .args:
      - .actual_access:  read_only
        .address_space:  global
        .offset:         0
        .size:           8
        .value_kind:     global_buffer
      - .offset:         8
        .size:           8
        .value_kind:     by_value
      - .actual_access:  read_only
        .address_space:  global
        .offset:         16
        .size:           8
        .value_kind:     global_buffer
      - .actual_access:  read_only
        .address_space:  global
        .offset:         24
        .size:           8
        .value_kind:     global_buffer
      - .actual_access:  read_only
        .address_space:  global
        .offset:         32
        .size:           8
        .value_kind:     global_buffer
      - .offset:         40
        .size:           8
        .value_kind:     by_value
      - .actual_access:  read_only
        .address_space:  global
        .offset:         48
        .size:           8
        .value_kind:     global_buffer
      - .actual_access:  read_only
        .address_space:  global
        .offset:         56
        .size:           8
        .value_kind:     global_buffer
      - .offset:         64
        .size:           4
        .value_kind:     by_value
      - .actual_access:  read_only
        .address_space:  global
        .offset:         72
        .size:           8
        .value_kind:     global_buffer
      - .actual_access:  read_only
        .address_space:  global
        .offset:         80
        .size:           8
        .value_kind:     global_buffer
      - .actual_access:  read_only
        .address_space:  global
        .offset:         88
        .size:           8
        .value_kind:     global_buffer
      - .actual_access:  write_only
        .address_space:  global
        .offset:         96
        .size:           8
        .value_kind:     global_buffer
    .group_segment_fixed_size: 0
    .kernarg_segment_align: 8
    .kernarg_segment_size: 104
    .language:       OpenCL C
    .language_version:
      - 2
      - 0
    .max_flat_workgroup_size: 104
    .name:           fft_rtc_back_len832_factors_13_2_2_2_2_2_2_wgs_104_tpt_104_halfLds_half_op_CI_CI_unitstride_sbrr_dirReg
    .private_segment_fixed_size: 0
    .sgpr_count:     33
    .sgpr_spill_count: 0
    .symbol:         fft_rtc_back_len832_factors_13_2_2_2_2_2_2_wgs_104_tpt_104_halfLds_half_op_CI_CI_unitstride_sbrr_dirReg.kd
    .uniform_work_group_size: 1
    .uses_dynamic_stack: false
    .vgpr_count:     59
    .vgpr_spill_count: 0
    .wavefront_size: 64
amdhsa.target:   amdgcn-amd-amdhsa--gfx906
amdhsa.version:
  - 1
  - 2
...

	.end_amdgpu_metadata
